;; amdgpu-corpus repo=ROCm/rocFFT kind=compiled arch=gfx950 opt=O3
	.text
	.amdgcn_target "amdgcn-amd-amdhsa--gfx950"
	.amdhsa_code_object_version 6
	.protected	fft_rtc_back_len125_factors_5_5_5_wgs_400_tpt_25_half_ip_CI_sbcc_twdbase6_3step_dirReg_intrinsicRead ; -- Begin function fft_rtc_back_len125_factors_5_5_5_wgs_400_tpt_25_half_ip_CI_sbcc_twdbase6_3step_dirReg_intrinsicRead
	.globl	fft_rtc_back_len125_factors_5_5_5_wgs_400_tpt_25_half_ip_CI_sbcc_twdbase6_3step_dirReg_intrinsicRead
	.p2align	8
	.type	fft_rtc_back_len125_factors_5_5_5_wgs_400_tpt_25_half_ip_CI_sbcc_twdbase6_3step_dirReg_intrinsicRead,@function
fft_rtc_back_len125_factors_5_5_5_wgs_400_tpt_25_half_ip_CI_sbcc_twdbase6_3step_dirReg_intrinsicRead: ; @fft_rtc_back_len125_factors_5_5_5_wgs_400_tpt_25_half_ip_CI_sbcc_twdbase6_3step_dirReg_intrinsicRead
; %bb.0:
	s_load_dwordx8 s[4:11], s[0:1], 0x8
	s_movk_i32 s3, 0xc0
	v_cmp_gt_u32_e32 vcc, s3, v0
	s_and_saveexec_b64 s[12:13], vcc
	s_cbranch_execz .LBB0_2
; %bb.1:
	v_lshlrev_b32_e32 v1, 2, v0
	s_waitcnt lgkmcnt(0)
	global_load_dword v2, v1, s[4:5]
	v_add_u32_e32 v1, 0, v1
	s_waitcnt vmcnt(0)
	ds_write_b32 v1, v2 offset:8000
.LBB0_2:
	s_or_b64 exec, exec, s[12:13]
	s_waitcnt lgkmcnt(0)
	s_load_dwordx2 s[18:19], s[8:9], 0x8
	s_mov_b32 s3, 0
	s_mov_b64 s[24:25], 0
	s_waitcnt lgkmcnt(0)
	s_add_u32 s4, s18, -1
	s_addc_u32 s5, s19, -1
	s_lshr_b64 s[4:5], s[4:5], 4
	s_add_u32 s20, s4, 1
	s_addc_u32 s21, s5, 0
	v_mov_b64_e32 v[2:3], s[20:21]
	v_cmp_lt_u64_e32 vcc, s[2:3], v[2:3]
	s_cbranch_vccnz .LBB0_4
; %bb.3:
	v_cvt_f32_u32_e32 v1, s20
	s_sub_i32 s4, 0, s20
	s_mov_b32 s25, s3
	v_rcp_iflag_f32_e32 v1, v1
	s_nop 0
	v_mul_f32_e32 v1, 0x4f7ffffe, v1
	v_cvt_u32_f32_e32 v1, v1
	s_nop 0
	v_readfirstlane_b32 s5, v1
	s_mul_i32 s4, s4, s5
	s_mul_hi_u32 s4, s5, s4
	s_add_i32 s5, s5, s4
	s_mul_hi_u32 s4, s2, s5
	s_mul_i32 s12, s4, s20
	s_sub_i32 s12, s2, s12
	s_add_i32 s5, s4, 1
	s_sub_i32 s13, s12, s20
	s_cmp_ge_u32 s12, s20
	s_cselect_b32 s4, s5, s4
	s_cselect_b32 s12, s13, s12
	s_add_i32 s5, s4, 1
	s_cmp_ge_u32 s12, s20
	s_cselect_b32 s24, s5, s4
.LBB0_4:
	s_load_dwordx2 s[4:5], s[0:1], 0x58
	s_load_dwordx2 s[16:17], s[0:1], 0x0
	s_load_dwordx4 s[12:15], s[10:11], 0x0
	s_mul_i32 s0, s24, s21
	s_mul_hi_u32 s1, s24, s20
	s_add_i32 s1, s1, s0
	s_mul_i32 s0, s24, s20
	s_sub_u32 s0, s2, s0
	s_subb_u32 s1, 0, s1
	v_mov_b32_e32 v1, s0
	s_lshl_b64 s[22:23], s[0:1], 4
	v_alignbit_b32 v1, s1, v1, 28
	s_waitcnt lgkmcnt(0)
	v_mul_lo_u32 v1, s14, v1
	s_mul_hi_u32 s0, s14, s22
	v_add_u32_e32 v1, s0, v1
	s_mul_i32 s0, s15, s22
	v_add_u32_e32 v3, s0, v1
	s_mul_i32 s0, s14, s22
	v_mov_b32_e32 v2, s0
	v_cmp_lt_u64_e64 s[0:1], s[6:7], 3
	s_and_b64 vcc, exec, s[0:1]
	s_cbranch_vccnz .LBB0_13
; %bb.5:
	s_add_u32 s26, s10, 16
	s_addc_u32 s27, s11, 0
	s_add_u32 s8, s8, 16
	s_addc_u32 s9, s9, 0
	s_mov_b64 s[28:29], 2
	s_mov_b32 s30, 0
	v_mov_b64_e32 v[4:5], s[6:7]
	s_branch .LBB0_7
.LBB0_6:                                ;   in Loop: Header=BB0_7 Depth=1
	s_mul_i32 s21, s34, s21
	s_mul_hi_u32 s31, s34, s20
	s_add_i32 s21, s31, s21
	s_mul_i32 s31, s35, s20
	s_add_i32 s21, s21, s31
	s_mul_i32 s31, s0, s35
	s_mul_hi_u32 s33, s0, s34
	s_load_dwordx2 s[36:37], s[26:27], 0x0
	s_add_i32 s31, s33, s31
	s_mul_i32 s33, s1, s34
	s_add_i32 s31, s31, s33
	s_mul_i32 s33, s0, s34
	s_sub_u32 s24, s24, s33
	s_subb_u32 s25, s25, s31
	s_waitcnt lgkmcnt(0)
	s_mul_i32 s25, s36, s25
	s_mul_hi_u32 s31, s36, s24
	s_add_i32 s25, s31, s25
	s_mul_i32 s31, s37, s24
	s_add_i32 s25, s25, s31
	s_add_u32 s28, s28, 1
	s_addc_u32 s29, s29, 0
	s_add_u32 s26, s26, 8
	s_addc_u32 s27, s27, 0
	s_mul_i32 s24, s36, s24
	s_add_u32 s8, s8, 8
	v_cmp_ge_u64_e32 vcc, s[28:29], v[4:5]
	s_mul_i32 s20, s34, s20
	v_lshl_add_u64 v[2:3], s[24:25], 0, v[2:3]
	s_addc_u32 s9, s9, 0
	s_mov_b64 s[24:25], s[0:1]
	s_cbranch_vccnz .LBB0_11
.LBB0_7:                                ; =>This Inner Loop Header: Depth=1
	s_load_dwordx2 s[34:35], s[8:9], 0x0
	s_waitcnt lgkmcnt(0)
	s_or_b64 s[0:1], s[24:25], s[34:35]
	s_mov_b32 s31, s1
	s_cmp_lg_u64 s[30:31], 0
	s_cbranch_scc0 .LBB0_9
; %bb.8:                                ;   in Loop: Header=BB0_7 Depth=1
	v_cvt_f32_u32_e32 v1, s34
	v_cvt_f32_u32_e32 v6, s35
	s_sub_u32 s0, 0, s34
	s_subb_u32 s1, 0, s35
	v_fmac_f32_e32 v1, 0x4f800000, v6
	v_rcp_f32_e32 v1, v1
	s_nop 0
	v_mul_f32_e32 v1, 0x5f7ffffc, v1
	v_mul_f32_e32 v6, 0x2f800000, v1
	v_trunc_f32_e32 v6, v6
	v_fmac_f32_e32 v1, 0xcf800000, v6
	v_cvt_u32_f32_e32 v6, v6
	v_cvt_u32_f32_e32 v1, v1
	v_readfirstlane_b32 s31, v6
	v_readfirstlane_b32 s33, v1
	s_mul_i32 s36, s0, s31
	s_mul_hi_u32 s38, s0, s33
	s_mul_i32 s37, s1, s33
	s_add_i32 s36, s38, s36
	s_mul_i32 s39, s0, s33
	s_add_i32 s36, s36, s37
	s_mul_hi_u32 s37, s33, s36
	s_mul_i32 s38, s33, s36
	s_mul_hi_u32 s33, s33, s39
	s_add_u32 s33, s33, s38
	s_addc_u32 s37, 0, s37
	s_mul_hi_u32 s40, s31, s39
	s_mul_i32 s39, s31, s39
	s_add_u32 s33, s33, s39
	s_mul_hi_u32 s38, s31, s36
	s_addc_u32 s33, s37, s40
	s_addc_u32 s37, s38, 0
	s_mul_i32 s36, s31, s36
	s_add_u32 s33, s33, s36
	s_addc_u32 s36, 0, s37
	v_add_co_u32_e32 v1, vcc, s33, v1
	s_cmp_lg_u64 vcc, 0
	s_addc_u32 s31, s31, s36
	v_readfirstlane_b32 s36, v1
	s_mul_i32 s33, s0, s31
	s_mul_hi_u32 s37, s0, s36
	s_add_i32 s33, s37, s33
	s_mul_i32 s1, s1, s36
	s_add_i32 s33, s33, s1
	s_mul_i32 s0, s0, s36
	s_mul_hi_u32 s37, s31, s0
	s_mul_i32 s38, s31, s0
	s_mul_i32 s40, s36, s33
	s_mul_hi_u32 s0, s36, s0
	s_mul_hi_u32 s39, s36, s33
	s_add_u32 s0, s0, s40
	s_addc_u32 s36, 0, s39
	s_add_u32 s0, s0, s38
	s_mul_hi_u32 s1, s31, s33
	s_addc_u32 s0, s36, s37
	s_addc_u32 s1, s1, 0
	s_mul_i32 s33, s31, s33
	s_add_u32 s0, s0, s33
	s_addc_u32 s1, 0, s1
	v_add_co_u32_e32 v1, vcc, s0, v1
	s_cmp_lg_u64 vcc, 0
	s_addc_u32 s0, s31, s1
	v_readfirstlane_b32 s33, v1
	s_mul_i32 s31, s24, s0
	s_mul_hi_u32 s36, s24, s33
	s_mul_hi_u32 s1, s24, s0
	s_add_u32 s31, s36, s31
	s_addc_u32 s1, 0, s1
	s_mul_hi_u32 s37, s25, s33
	s_mul_i32 s33, s25, s33
	s_add_u32 s31, s31, s33
	s_mul_hi_u32 s36, s25, s0
	s_addc_u32 s1, s1, s37
	s_addc_u32 s31, s36, 0
	s_mul_i32 s0, s25, s0
	s_add_u32 s33, s1, s0
	s_addc_u32 s31, 0, s31
	s_mul_i32 s0, s34, s31
	s_mul_hi_u32 s1, s34, s33
	s_add_i32 s0, s1, s0
	s_mul_i32 s1, s35, s33
	s_add_i32 s36, s0, s1
	s_mul_i32 s1, s34, s33
	v_mov_b32_e32 v1, s1
	s_sub_i32 s0, s25, s36
	v_sub_co_u32_e32 v1, vcc, s24, v1
	s_cmp_lg_u64 vcc, 0
	s_subb_u32 s37, s0, s35
	v_subrev_co_u32_e64 v6, s[0:1], s34, v1
	s_cmp_lg_u64 s[0:1], 0
	s_subb_u32 s0, s37, 0
	s_cmp_ge_u32 s0, s35
	v_readfirstlane_b32 s37, v6
	s_cselect_b32 s1, -1, 0
	s_cmp_ge_u32 s37, s34
	s_cselect_b32 s37, -1, 0
	s_cmp_eq_u32 s0, s35
	s_cselect_b32 s0, s37, s1
	s_add_u32 s1, s33, 1
	s_addc_u32 s37, s31, 0
	s_add_u32 s38, s33, 2
	s_addc_u32 s39, s31, 0
	s_cmp_lg_u32 s0, 0
	s_cselect_b32 s0, s38, s1
	s_cselect_b32 s1, s39, s37
	s_cmp_lg_u64 vcc, 0
	s_subb_u32 s36, s25, s36
	s_cmp_ge_u32 s36, s35
	v_readfirstlane_b32 s38, v1
	s_cselect_b32 s37, -1, 0
	s_cmp_ge_u32 s38, s34
	s_cselect_b32 s38, -1, 0
	s_cmp_eq_u32 s36, s35
	s_cselect_b32 s36, s38, s37
	s_cmp_lg_u32 s36, 0
	s_cselect_b32 s1, s1, s31
	s_cselect_b32 s0, s0, s33
	s_cbranch_execnz .LBB0_6
	s_branch .LBB0_10
.LBB0_9:                                ;   in Loop: Header=BB0_7 Depth=1
                                        ; implicit-def: $sgpr0_sgpr1
.LBB0_10:                               ;   in Loop: Header=BB0_7 Depth=1
	v_cvt_f32_u32_e32 v1, s34
	s_sub_i32 s0, 0, s34
	v_rcp_iflag_f32_e32 v1, v1
	s_nop 0
	v_mul_f32_e32 v1, 0x4f7ffffe, v1
	v_cvt_u32_f32_e32 v1, v1
	s_nop 0
	v_readfirstlane_b32 s1, v1
	s_mul_i32 s0, s0, s1
	s_mul_hi_u32 s0, s1, s0
	s_add_i32 s1, s1, s0
	s_mul_hi_u32 s0, s24, s1
	s_mul_i32 s31, s0, s34
	s_sub_i32 s31, s24, s31
	s_add_i32 s1, s0, 1
	s_sub_i32 s33, s31, s34
	s_cmp_ge_u32 s31, s34
	s_cselect_b32 s0, s1, s0
	s_cselect_b32 s31, s33, s31
	s_add_i32 s1, s0, 1
	s_cmp_ge_u32 s31, s34
	s_cselect_b32 s0, s1, s0
	s_mov_b32 s1, s30
	s_branch .LBB0_6
.LBB0_11:
	v_mov_b64_e32 v[4:5], s[20:21]
	v_cmp_lt_u64_e32 vcc, s[2:3], v[4:5]
	s_mov_b64 s[24:25], 0
	s_cbranch_vccnz .LBB0_13
; %bb.12:
	v_cvt_f32_u32_e32 v1, s20
	s_sub_i32 s0, 0, s20
	v_rcp_iflag_f32_e32 v1, v1
	s_nop 0
	v_mul_f32_e32 v1, 0x4f7ffffe, v1
	v_cvt_u32_f32_e32 v1, v1
	s_nop 0
	v_readfirstlane_b32 s1, v1
	s_mul_i32 s0, s0, s1
	s_mul_hi_u32 s0, s1, s0
	s_add_i32 s1, s1, s0
	s_mul_hi_u32 s0, s2, s1
	s_mul_i32 s3, s0, s20
	s_sub_i32 s2, s2, s3
	s_add_i32 s1, s0, 1
	s_sub_i32 s3, s2, s20
	s_cmp_ge_u32 s2, s20
	s_cselect_b32 s0, s1, s0
	s_cselect_b32 s2, s3, s2
	s_add_i32 s1, s0, 1
	s_cmp_ge_u32 s2, s20
	s_cselect_b32 s24, s1, s0
.LBB0_13:
	s_lshl_b64 s[0:1], s[6:7], 3
	s_add_u32 s0, s10, s0
	s_addc_u32 s1, s11, s1
	s_load_dwordx2 s[0:1], s[0:1], 0x0
	v_and_b32_e32 v8, 15, v0
	v_mov_b64_e32 v[4:5], s[18:19]
	v_or_b32_e32 v6, s22, v8
	v_mov_b32_e32 v7, s23
	s_waitcnt lgkmcnt(0)
	s_mul_i32 s1, s1, s24
	s_mul_hi_u32 s2, s0, s24
	s_mul_i32 s0, s0, s24
	s_add_i32 s1, s2, s1
	v_lshl_add_u64 v[2:3], s[0:1], 0, v[2:3]
	s_add_u32 s0, s22, 16
	s_addc_u32 s1, s23, 0
	v_cmp_le_u64_e32 vcc, s[0:1], v[4:5]
	v_mad_u64_u32 v[4:5], s[0:1], s14, v8, 0
	v_mov_b32_e32 v10, v5
	v_mad_u64_u32 v[10:11], s[0:1], s15, v8, v[10:11]
	v_cmp_gt_u64_e64 s[0:1], s[18:19], v[6:7]
	v_lshrrev_b32_e32 v1, 4, v0
	v_mov_b32_e32 v5, v10
	s_or_b64 s[0:1], vcc, s[0:1]
	v_mov_b32_e32 v9, 0
	v_mov_b32_e32 v7, 0
	s_and_saveexec_b64 s[2:3], s[0:1]
	s_cbranch_execz .LBB0_15
; %bb.14:
	v_mul_lo_u32 v7, s12, v1
	v_add3_u32 v10, v2, v4, v7
	v_mov_b32_e32 v11, 0
	v_lshl_add_u64 v[10:11], v[10:11], 2, s[4:5]
	global_load_dword v7, v[10:11], off
.LBB0_15:
	s_or_b64 exec, exec, s[2:3]
	s_and_saveexec_b64 s[2:3], s[0:1]
	s_cbranch_execz .LBB0_17
; %bb.16:
	v_add_u32_e32 v9, 25, v1
	v_mul_lo_u32 v9, s12, v9
	v_add3_u32 v10, v2, v4, v9
	v_mov_b32_e32 v11, 0
	v_lshl_add_u64 v[10:11], v[10:11], 2, s[4:5]
	global_load_dword v9, v[10:11], off
.LBB0_17:
	s_or_b64 exec, exec, s[2:3]
	v_mov_b32_e32 v10, 0
	v_mov_b32_e32 v11, 0
	s_and_saveexec_b64 s[2:3], s[0:1]
	s_cbranch_execnz .LBB0_24
; %bb.18:
	s_or_b64 exec, exec, s[2:3]
	s_and_saveexec_b64 s[2:3], s[0:1]
	s_cbranch_execnz .LBB0_25
.LBB0_19:
	s_or_b64 exec, exec, s[2:3]
	v_mov_b32_e32 v12, 0
	s_and_saveexec_b64 s[2:3], s[0:1]
	s_cbranch_execz .LBB0_21
.LBB0_20:
	v_add_u32_e32 v12, 0x64, v1
	v_mul_lo_u32 v12, s12, v12
	v_add3_u32 v12, v2, v4, v12
	v_mov_b32_e32 v13, 0
	v_lshl_add_u64 v[12:13], v[12:13], 2, s[4:5]
	global_load_dword v12, v[12:13], off
.LBB0_21:
	s_or_b64 exec, exec, s[2:3]
	s_waitcnt vmcnt(0)
	v_pk_add_f16 v16, v11, v10
	v_pk_add_f16 v19, v9, v12 neg_lo:[0,1] neg_hi:[0,1]
	s_movk_i32 s6, 0x3b9c
	v_pk_add_f16 v15, v11, v10 neg_lo:[0,1] neg_hi:[0,1]
	v_pk_fma_f16 v16, v16, 0.5, v7 op_sel_hi:[1,0,1] neg_lo:[1,0,0] neg_hi:[1,0,0]
	s_movk_i32 s2, 0x38b4
	v_pk_add_f16 v18, v9, v11 neg_lo:[0,1] neg_hi:[0,1]
	v_pk_mul_f16 v20, v19, s6 op_sel_hi:[1,0]
	v_pk_add_f16 v21, v12, v10 neg_lo:[0,1] neg_hi:[0,1]
	v_lshlrev_b32_e32 v14, 2, v8
	v_pk_add_f16 v8, v7, v9
	v_pk_mul_f16 v17, v15, s2 op_sel_hi:[1,0]
	v_pk_add_f16 v18, v18, v21
	v_pk_add_f16 v21, v16, v20 op_sel:[0,1] op_sel_hi:[1,0] neg_lo:[0,1] neg_hi:[0,1]
	v_pk_add_f16 v16, v16, v20 op_sel:[0,1] op_sel_hi:[1,0]
	v_pk_add_f16 v8, v8, v11
	v_pk_add_f16 v20, v21, v17 op_sel:[0,1] op_sel_hi:[1,0] neg_lo:[0,1] neg_hi:[0,1]
	s_mov_b32 s7, 0xffff
	v_pk_add_f16 v16, v16, v17 op_sel:[0,1] op_sel_hi:[1,0]
	v_mul_u32_u24_e32 v13, 0x140, v1
	v_pk_add_f16 v8, v8, v10
	v_bfi_b32 v17, s7, v20, v16
	s_movk_i32 s3, 0x34f2
	v_add3_u32 v13, 0, v13, v14
	v_pk_add_f16 v8, v8, v12
	v_pk_fma_f16 v17, v18, s3, v17 op_sel_hi:[1,0,1]
	ds_write2_b32 v13, v8, v17 offset1:16
	v_pk_add_f16 v8, v11, v9 neg_lo:[0,1] neg_hi:[0,1]
	v_pk_add_f16 v9, v9, v12
	s_mov_b32 s8, 0xb8b4
	v_pk_fma_f16 v7, v9, 0.5, v7 op_sel_hi:[1,0,1] neg_lo:[1,0,0] neg_hi:[1,0,0]
	v_pk_add_f16 v9, v10, v12 neg_lo:[0,1] neg_hi:[0,1]
	v_pk_mul_f16 v10, v19, s2 op_sel_hi:[1,0]
	v_pk_add_f16 v8, v8, v9
	v_pk_mul_f16 v9, v15, s6 op_sel_hi:[1,0]
	s_mov_b32 s9, 0x3333334
	v_pk_add_f16 v11, v7, v9 op_sel:[0,1] op_sel_hi:[1,0]
	v_pk_add_f16 v7, v7, v9 op_sel:[0,1] op_sel_hi:[1,0] neg_lo:[0,1] neg_hi:[0,1]
	v_pk_add_f16 v9, v11, v10 op_sel:[0,1] op_sel_hi:[1,0] neg_lo:[0,1] neg_hi:[0,1]
	v_pk_add_f16 v7, v7, v10 op_sel:[0,1] op_sel_hi:[1,0]
	s_nop 0
	v_bfi_b32 v10, s7, v9, v7
	v_bfi_b32 v7, s7, v7, v9
	v_pk_fma_f16 v10, v8, s3, v10 op_sel_hi:[1,0,1]
	v_pk_fma_f16 v7, v8, s3, v7 op_sel_hi:[1,0,1]
	ds_write2_b32 v13, v10, v7 offset0:32 offset1:48
	v_bfi_b32 v7, s7, v16, v20
	v_pk_fma_f16 v7, v18, s3, v7 op_sel_hi:[1,0,1]
	s_mov_b32 s7, 0x33333334
	ds_write_b32 v13, v7 offset:256
	v_mul_hi_u32 v7, v1, s7
	v_lshl_add_u32 v7, v7, 2, v7
	v_sub_u32_e32 v12, v1, v7
	v_lshlrev_b32_e32 v7, 4, v12
	s_waitcnt lgkmcnt(0)
	s_barrier
	global_load_dwordx4 v[8:11], v7, s[16:17]
	v_lshlrev_b32_e32 v7, 8, v1
	v_sub_u32_e32 v7, v13, v7
	ds_read_b32 v13, v7
	ds_read_u16 v15, v7 offset:2
	ds_read_b32 v16, v7 offset:1600
	ds_read_b32 v17, v7 offset:3200
	;; [unrolled: 1-line block ×4, first 2 shown]
	s_mov_b32 s7, 0xbb9c
	s_waitcnt lgkmcnt(3)
	v_lshrrev_b32_e32 v20, 16, v16
	s_waitcnt lgkmcnt(2)
	v_lshrrev_b32_e32 v21, 16, v17
	;; [unrolled: 2-line block ×4, first 2 shown]
	s_barrier
	s_waitcnt vmcnt(0)
	v_mul_f16_sdwa v26, v9, v21 dst_sel:DWORD dst_unused:UNUSED_PAD src0_sel:WORD_1 src1_sel:DWORD
	v_mul_f16_sdwa v28, v10, v22 dst_sel:DWORD dst_unused:UNUSED_PAD src0_sel:WORD_1 src1_sel:DWORD
	;; [unrolled: 1-line block ×8, first 2 shown]
	v_fma_f16 v17, v9, v17, v26
	v_fma_f16 v18, v10, v18, v28
	;; [unrolled: 1-line block ×3, first 2 shown]
	v_fma_f16 v8, v8, v20, -v25
	v_fma_f16 v9, v9, v21, -v27
	v_fma_f16 v19, v11, v19, v30
	v_fma_f16 v11, v11, v23, -v31
	v_add_f16_e32 v21, v17, v18
	v_fma_f16 v10, v10, v22, -v29
	v_sub_f16_e32 v22, v8, v11
	v_fma_f16 v21, v21, -0.5, v13
	v_fma_f16 v23, v22, s7, v21
	v_sub_f16_e32 v24, v9, v10
	v_sub_f16_e32 v25, v16, v17
	;; [unrolled: 1-line block ×3, first 2 shown]
	v_fma_f16 v21, v22, s6, v21
	v_fma_f16 v23, v24, s8, v23
	v_add_f16_e32 v25, v25, v26
	v_fma_f16 v21, v24, s2, v21
	v_fma_f16 v23, v25, s3, v23
	;; [unrolled: 1-line block ×3, first 2 shown]
	v_add_f16_e32 v25, v16, v19
	v_add_f16_e32 v20, v16, v13
	v_fma_f16 v13, v25, -0.5, v13
	v_add_f16_e32 v20, v20, v17
	v_fma_f16 v25, v24, s6, v13
	v_fma_f16 v13, v24, s7, v13
	v_add_f16_e32 v24, v9, v10
	v_add_f16_e32 v20, v20, v18
	v_sub_f16_e32 v26, v17, v16
	v_sub_f16_e32 v27, v18, v19
	v_fma_f16 v24, v24, -0.5, v15
	v_sub_f16_e32 v16, v16, v19
	v_add_f16_e32 v20, v20, v19
	v_fma_f16 v25, v22, s8, v25
	v_add_f16_e32 v26, v26, v27
	v_fma_f16 v13, v22, s2, v13
	v_fma_f16 v19, v16, s6, v24
	v_sub_f16_e32 v17, v17, v18
	v_fma_f16 v25, v26, s3, v25
	v_fma_f16 v13, v26, s3, v13
	;; [unrolled: 1-line block ×3, first 2 shown]
	v_sub_f16_e32 v19, v8, v9
	v_sub_f16_e32 v26, v11, v10
	v_fma_f16 v24, v16, s7, v24
	v_add_f16_e32 v19, v19, v26
	v_fma_f16 v24, v17, s8, v24
	v_add_f16_e32 v22, v15, v8
	v_fma_f16 v18, v19, s3, v18
	v_fma_f16 v19, v19, s3, v24
	v_add_f16_e32 v24, v8, v11
	v_add_f16_e32 v22, v22, v9
	v_fma_f16 v15, v24, -0.5, v15
	v_add_f16_e32 v22, v22, v10
	v_fma_f16 v24, v17, s7, v15
	v_sub_f16_e32 v8, v9, v8
	v_sub_f16_e32 v9, v10, v11
	v_fma_f16 v10, v17, s6, v15
	v_fma_f16 v24, v16, s2, v24
	v_add_f16_e32 v8, v8, v9
	v_fma_f16 v10, v16, s8, v10
	v_fma_f16 v9, v8, s3, v24
	;; [unrolled: 1-line block ×3, first 2 shown]
	v_mul_hi_u32 v10, v0, s9
	v_mul_u32_u24_e32 v10, 25, v10
	v_add_lshl_u32 v10, v10, v12, 6
	v_add_f16_e32 v22, v22, v11
	v_add3_u32 v10, 0, v10, v14
	v_pack_b32_f16 v9, v25, v9
	v_pack_b32_f16 v8, v13, v8
	;; [unrolled: 1-line block ×4, first 2 shown]
	ds_write2_b32 v10, v9, v8 offset0:160 offset1:240
	v_pack_b32_f16 v8, v21, v19
	ds_write2_b32 v10, v11, v12 offset1:80
	ds_write_b32 v10, v8 offset:1280
	s_waitcnt lgkmcnt(0)
	s_barrier
	s_and_saveexec_b64 s[10:11], s[0:1]
	s_cbranch_execz .LBB0_23
; %bb.22:
	s_mov_b32 s0, 0xa3d70a4
	v_mul_hi_u32 v8, v1, s0
	v_mul_u32_u24_e32 v8, 25, v8
	v_sub_u32_e32 v1, v1, v8
	v_lshlrev_b32_e32 v8, 4, v1
	global_load_dwordx4 v[8:11], v8, s[16:17] offset:80
	s_movk_i32 s1, 0xffe7
	v_add_u32_e32 v18, 0x64, v1
	v_mul_lo_u32 v17, v6, s1
	v_mul_lo_u32 v18, v18, v6
	v_lshrrev_b32_e32 v23, 10, v18
	v_and_b32_e32 v24, 63, v18
	v_lshrrev_b32_e32 v25, 4, v18
	v_add_u32_e32 v18, v18, v17
	v_lshrrev_b32_e32 v26, 10, v18
	v_and_b32_e32 v27, 63, v18
	v_lshrrev_b32_e32 v28, 4, v18
	v_add_u32_e32 v18, v18, v17
	ds_read_b32 v12, v7 offset:3200
	ds_read_b32 v13, v7 offset:6400
	;; [unrolled: 1-line block ×3, first 2 shown]
	ds_read_b32 v15, v7
	ds_read_b32 v16, v7 offset:1600
	ds_read_u16 v7, v7 offset:2
	v_lshrrev_b32_e32 v29, 10, v18
	s_add_i32 s0, 0, 0x1f40
	v_and_b32_e32 v23, 0xfc, v23
	v_and_b32_e32 v25, 0xfc, v25
	;; [unrolled: 1-line block ×6, first 2 shown]
	v_lshl_add_u32 v24, v24, 2, 0
	v_add_u32_e32 v23, s0, v23
	v_add_u32_e32 v25, s0, v25
	v_lshl_add_u32 v27, v27, 2, 0
	v_add_u32_e32 v26, s0, v26
	v_add_u32_e32 v28, s0, v28
	v_lshl_add_u32 v30, v30, 2, 0
	v_add_u32_e32 v29, s0, v29
	ds_read_b32 v23, v23 offset:512
	ds_read_b32 v24, v24 offset:8000
	;; [unrolled: 1-line block ×8, first 2 shown]
	s_waitcnt lgkmcnt(6)
	v_lshrrev_b32_e32 v31, 16, v24
	v_lshrrev_b32_e32 v19, 16, v16
	v_lshrrev_b32_e32 v20, 16, v12
	v_lshrrev_b32_e32 v21, 16, v13
	v_lshrrev_b32_e32 v22, 16, v14
	s_waitcnt lgkmcnt(5)
	v_mul_f16_sdwa v32, v24, v25 dst_sel:DWORD dst_unused:UNUSED_PAD src0_sel:DWORD src1_sel:WORD_1
	v_mul_f16_sdwa v33, v31, v25 dst_sel:DWORD dst_unused:UNUSED_PAD src0_sel:DWORD src1_sel:WORD_1
	v_fma_f16 v31, v31, v25, v32
	v_fma_f16 v24, v24, v25, -v33
	v_mul_f16_sdwa v25, v31, v23 dst_sel:DWORD dst_unused:UNUSED_PAD src0_sel:DWORD src1_sel:WORD_1
	v_fma_f16 v25, v23, v24, -v25
	v_mul_f16_sdwa v24, v24, v23 dst_sel:DWORD dst_unused:UNUSED_PAD src0_sel:DWORD src1_sel:WORD_1
	v_fma_f16 v23, v23, v31, v24
	v_add_u32_e32 v17, v18, v17
	v_mul_lo_u32 v6, v1, v6
	v_mul_hi_u32_u24_e32 v0, 0xa3d70b, v0
	v_lshlrev_b64 v[2:3], 2, v[2:3]
	v_lshl_add_u64 v[2:3], s[4:5], 0, v[2:3]
	v_lshl_add_u64 v[2:3], v[4:5], 2, v[2:3]
	s_waitcnt vmcnt(0)
	v_mul_f16_sdwa v32, v8, v16 dst_sel:DWORD dst_unused:UNUSED_PAD src0_sel:WORD_1 src1_sel:DWORD
	v_mul_f16_sdwa v33, v9, v12 dst_sel:DWORD dst_unused:UNUSED_PAD src0_sel:WORD_1 src1_sel:DWORD
	;; [unrolled: 1-line block ×8, first 2 shown]
	v_fma_f16 v19, v8, v19, -v32
	v_fma_f16 v20, v9, v20, -v33
	;; [unrolled: 1-line block ×4, first 2 shown]
	v_fma_f16 v8, v8, v16, v36
	v_fma_f16 v11, v11, v13, v37
	;; [unrolled: 1-line block ×4, first 2 shown]
	v_sub_f16_e32 v12, v19, v20
	v_sub_f16_e32 v13, v21, v22
	v_add_f16_e32 v14, v20, v22
	v_sub_f16_e32 v33, v8, v9
	v_sub_f16_e32 v34, v11, v10
	v_add_f16_e32 v36, v9, v10
	;; [unrolled: 3-line block ×3, first 2 shown]
	v_fma_f16 v13, v14, -0.5, v7
	v_add_f16_e32 v14, v33, v34
	v_fma_f16 v33, v36, -0.5, v15
	v_sub_f16_e32 v32, v9, v10
	v_sub_f16_e32 v35, v20, v22
	v_fma_f16 v34, v16, s7, v13
	v_fma_f16 v36, v37, s6, v33
	;; [unrolled: 1-line block ×6, first 2 shown]
	v_mul_f16_e32 v24, v36, v23
	v_mul_f16_e32 v23, v34, v23
	v_fma_f16 v23, v36, v25, v23
	s_waitcnt lgkmcnt(3)
	v_lshrrev_b32_e32 v36, 16, v27
	s_waitcnt lgkmcnt(2)
	v_mul_f16_sdwa v38, v36, v28 dst_sel:DWORD dst_unused:UNUSED_PAD src0_sel:DWORD src1_sel:WORD_1
	v_fma_f16 v38, v27, v28, -v38
	v_mul_f16_sdwa v27, v27, v28 dst_sel:DWORD dst_unused:UNUSED_PAD src0_sel:DWORD src1_sel:WORD_1
	v_fma_f16 v24, v34, v25, -v24
	v_sub_f16_e32 v25, v20, v19
	v_sub_f16_e32 v31, v22, v21
	v_fma_f16 v27, v36, v28, v27
	v_sub_f16_e32 v36, v9, v8
	v_sub_f16_e32 v39, v10, v11
	v_add_f16_e32 v25, v25, v31
	v_add_f16_e32 v31, v19, v21
	;; [unrolled: 1-line block ×4, first 2 shown]
	v_fma_f16 v31, v31, -0.5, v7
	v_fma_f16 v39, v39, -0.5, v15
	v_fma_f16 v34, v32, s6, v31
	v_mul_f16_sdwa v28, v27, v26 dst_sel:DWORD dst_unused:UNUSED_PAD src0_sel:DWORD src1_sel:WORD_1
	v_fma_f16 v40, v35, s7, v39
	v_fma_f16 v34, v16, s8, v34
	v_fma_f16 v28, v26, v38, -v28
	v_fma_f16 v40, v37, s2, v40
	v_mul_f16_sdwa v38, v38, v26 dst_sel:DWORD dst_unused:UNUSED_PAD src0_sel:DWORD src1_sel:WORD_1
	v_fma_f16 v34, v25, s3, v34
	v_fma_f16 v40, v36, s3, v40
	;; [unrolled: 1-line block ×3, first 2 shown]
	v_mul_f16_e32 v27, v40, v26
	v_mul_f16_e32 v26, v34, v26
	v_fma_f16 v27, v34, v28, -v27
	v_fma_f16 v26, v40, v28, v26
	v_fma_f16 v28, v32, s7, v31
	v_lshrrev_b32_e32 v31, 4, v18
	v_lshrrev_b32_e32 v18, 10, v17
	v_and_b32_e32 v34, 63, v17
	v_lshrrev_b32_e32 v17, 4, v17
	v_lshrrev_b32_e32 v38, 10, v6
	v_and_b32_e32 v40, 63, v6
	v_lshrrev_b32_e32 v6, 4, v6
	v_fma_f16 v28, v16, s2, v28
	v_and_b32_e32 v31, 0xfc, v31
	v_and_b32_e32 v18, 0xfc, v18
	;; [unrolled: 1-line block ×5, first 2 shown]
	v_fma_f16 v25, v25, s3, v28
	s_waitcnt lgkmcnt(0)
	v_lshrrev_b32_e32 v28, 16, v30
	v_add_u32_e32 v31, s0, v31
	v_add_u32_e32 v18, s0, v18
	v_lshl_add_u32 v34, v34, 2, 0
	v_add_u32_e32 v17, s0, v17
	v_add_u32_e32 v38, s0, v38
	v_lshl_add_u32 v40, v40, 2, 0
	v_add_u32_e32 v6, s0, v6
	ds_read_b32 v31, v31 offset:256
	ds_read_b32 v18, v18 offset:512
	ds_read_b32 v34, v34 offset:8000
	ds_read_b32 v17, v17 offset:256
	ds_read_b32 v38, v38 offset:512
	ds_read_b32 v40, v40 offset:8000
	ds_read_b32 v6, v6 offset:256
	s_waitcnt lgkmcnt(6)
	v_mul_f16_sdwa v41, v28, v31 dst_sel:DWORD dst_unused:UNUSED_PAD src0_sel:DWORD src1_sel:WORD_1
	v_fma_f16 v41, v30, v31, -v41
	v_mul_f16_sdwa v30, v30, v31 dst_sel:DWORD dst_unused:UNUSED_PAD src0_sel:DWORD src1_sel:WORD_1
	v_fma_f16 v28, v28, v31, v30
	v_fma_f16 v31, v35, s6, v39
	v_fma_f16 v31, v37, s8, v31
	v_fma_f16 v31, v36, s3, v31
	v_mul_f16_sdwa v36, v41, v29 dst_sel:DWORD dst_unused:UNUSED_PAD src0_sel:DWORD src1_sel:WORD_1
	v_mul_f16_sdwa v30, v28, v29 dst_sel:DWORD dst_unused:UNUSED_PAD src0_sel:DWORD src1_sel:WORD_1
	v_fma_f16 v28, v29, v28, v36
	v_fma_f16 v13, v16, s6, v13
	v_fma_f16 v30, v29, v41, -v30
	v_mul_f16_e32 v29, v31, v28
	v_fma_f16 v13, v32, s2, v13
	v_fma_f16 v29, v25, v30, -v29
	v_mul_f16_e32 v25, v25, v28
	v_fma_f16 v12, v12, s3, v13
	s_waitcnt lgkmcnt(4)
	v_lshrrev_b32_e32 v13, 16, v34
	s_waitcnt lgkmcnt(3)
	v_mul_f16_sdwa v28, v34, v17 dst_sel:DWORD dst_unused:UNUSED_PAD src0_sel:DWORD src1_sel:WORD_1
	v_mul_f16_sdwa v16, v13, v17 dst_sel:DWORD dst_unused:UNUSED_PAD src0_sel:DWORD src1_sel:WORD_1
	v_fma_f16 v13, v13, v17, v28
	v_fma_f16 v16, v34, v17, -v16
	v_mul_f16_sdwa v17, v13, v18 dst_sel:DWORD dst_unused:UNUSED_PAD src0_sel:DWORD src1_sel:WORD_1
	v_fma_f16 v28, v37, s7, v33
	v_fma_f16 v17, v18, v16, -v17
	v_fma_f16 v28, v35, s8, v28
	v_mul_f16_sdwa v16, v16, v18 dst_sel:DWORD dst_unused:UNUSED_PAD src0_sel:DWORD src1_sel:WORD_1
	v_fma_f16 v14, v14, s3, v28
	v_fma_f16 v13, v18, v13, v16
	v_mul_f16_e32 v16, v14, v13
	v_fma_f16 v16, v12, v17, -v16
	v_mul_f16_e32 v12, v12, v13
	s_waitcnt lgkmcnt(1)
	v_lshrrev_b32_e32 v13, 16, v40
	v_fma_f16 v12, v14, v17, v12
	v_add_f16_e32 v7, v7, v19
	s_waitcnt lgkmcnt(0)
	v_mul_f16_sdwa v14, v13, v6 dst_sel:DWORD dst_unused:UNUSED_PAD src0_sel:DWORD src1_sel:WORD_1
	v_add_f16_e32 v8, v8, v15
	v_add_f16_e32 v7, v7, v20
	v_fma_f16 v14, v40, v6, -v14
	v_mul_f16_sdwa v17, v40, v6 dst_sel:DWORD dst_unused:UNUSED_PAD src0_sel:DWORD src1_sel:WORD_1
	v_add_f16_e32 v8, v8, v9
	v_add_f16_e32 v7, v7, v22
	v_fma_f16 v6, v13, v6, v17
	v_add_f16_e32 v8, v8, v10
	v_mul_f16_sdwa v9, v14, v38 dst_sel:DWORD dst_unused:UNUSED_PAD src0_sel:DWORD src1_sel:WORD_1
	s_movk_i32 s0, 0x7d
	v_add_f16_e32 v7, v7, v21
	v_mul_f16_sdwa v13, v6, v38 dst_sel:DWORD dst_unused:UNUSED_PAD src0_sel:DWORD src1_sel:WORD_1
	v_add_f16_e32 v8, v8, v11
	v_fma_f16 v6, v38, v6, v9
	v_mad_u32_u24 v10, v0, s0, v1
	v_fma_f16 v13, v38, v14, -v13
	v_mul_f16_e32 v9, v8, v6
	v_mul_f16_e32 v6, v7, v6
	v_mad_u64_u32 v[0:1], s[0:1], s12, v10, 0
	v_fma_f16 v8, v8, v13, v6
	v_mov_b32_e32 v6, v1
	v_fma_f16 v9, v7, v13, -v9
	v_mad_u64_u32 v[6:7], s[0:1], s13, v10, v[6:7]
	v_mov_b32_e32 v1, v6
	v_lshl_add_u64 v[0:1], v[0:1], 2, v[2:3]
	v_pack_b32_f16 v4, v8, v9
	v_add_u32_e32 v5, 25, v10
	global_store_dword v[0:1], v4, off
	v_mad_u64_u32 v[0:1], s[0:1], s12, v5, 0
	v_mov_b32_e32 v4, v1
	v_mad_u64_u32 v[4:5], s[0:1], s13, v5, v[4:5]
	v_mov_b32_e32 v1, v4
	v_lshl_add_u64 v[0:1], v[0:1], 2, v[2:3]
	v_pack_b32_f16 v4, v12, v16
	v_add_u32_e32 v5, 50, v10
	global_store_dword v[0:1], v4, off
	v_mad_u64_u32 v[0:1], s[0:1], s12, v5, 0
	v_mov_b32_e32 v4, v1
	v_mad_u64_u32 v[4:5], s[0:1], s13, v5, v[4:5]
	v_fma_f16 v25, v31, v30, v25
	v_mov_b32_e32 v1, v4
	v_lshl_add_u64 v[0:1], v[0:1], 2, v[2:3]
	v_pack_b32_f16 v4, v25, v29
	v_add_u32_e32 v5, 0x4b, v10
	global_store_dword v[0:1], v4, off
	v_mad_u64_u32 v[0:1], s[0:1], s12, v5, 0
	v_mov_b32_e32 v4, v1
	v_mad_u64_u32 v[4:5], s[0:1], s13, v5, v[4:5]
	v_mov_b32_e32 v1, v4
	v_lshl_add_u64 v[0:1], v[0:1], 2, v[2:3]
	v_pack_b32_f16 v4, v26, v27
	v_add_u32_e32 v5, 0x64, v10
	global_store_dword v[0:1], v4, off
	v_mad_u64_u32 v[0:1], s[0:1], s12, v5, 0
	v_mov_b32_e32 v4, v1
	v_mad_u64_u32 v[4:5], s[0:1], s13, v5, v[4:5]
	v_mov_b32_e32 v1, v4
	v_lshl_add_u64 v[0:1], v[0:1], 2, v[2:3]
	v_pack_b32_f16 v2, v23, v24
	global_store_dword v[0:1], v2, off
.LBB0_23:
	s_endpgm
.LBB0_24:
	v_add_u32_e32 v11, 50, v1
	v_mul_lo_u32 v11, s12, v11
	v_add3_u32 v12, v2, v4, v11
	v_mov_b32_e32 v13, 0
	v_lshl_add_u64 v[12:13], v[12:13], 2, s[4:5]
	global_load_dword v11, v[12:13], off
	s_or_b64 exec, exec, s[2:3]
	s_and_saveexec_b64 s[2:3], s[0:1]
	s_cbranch_execz .LBB0_19
.LBB0_25:
	v_add_u32_e32 v10, 0x4b, v1
	v_mul_lo_u32 v10, s12, v10
	v_add3_u32 v12, v2, v4, v10
	v_mov_b32_e32 v13, 0
	v_lshl_add_u64 v[12:13], v[12:13], 2, s[4:5]
	global_load_dword v10, v[12:13], off
	s_or_b64 exec, exec, s[2:3]
	v_mov_b32_e32 v12, 0
	s_and_saveexec_b64 s[2:3], s[0:1]
	s_cbranch_execnz .LBB0_20
	s_branch .LBB0_21
	.section	.rodata,"a",@progbits
	.p2align	6, 0x0
	.amdhsa_kernel fft_rtc_back_len125_factors_5_5_5_wgs_400_tpt_25_half_ip_CI_sbcc_twdbase6_3step_dirReg_intrinsicRead
		.amdhsa_group_segment_fixed_size 0
		.amdhsa_private_segment_fixed_size 0
		.amdhsa_kernarg_size 96
		.amdhsa_user_sgpr_count 2
		.amdhsa_user_sgpr_dispatch_ptr 0
		.amdhsa_user_sgpr_queue_ptr 0
		.amdhsa_user_sgpr_kernarg_segment_ptr 1
		.amdhsa_user_sgpr_dispatch_id 0
		.amdhsa_user_sgpr_kernarg_preload_length 0
		.amdhsa_user_sgpr_kernarg_preload_offset 0
		.amdhsa_user_sgpr_private_segment_size 0
		.amdhsa_uses_dynamic_stack 0
		.amdhsa_enable_private_segment 0
		.amdhsa_system_sgpr_workgroup_id_x 1
		.amdhsa_system_sgpr_workgroup_id_y 0
		.amdhsa_system_sgpr_workgroup_id_z 0
		.amdhsa_system_sgpr_workgroup_info 0
		.amdhsa_system_vgpr_workitem_id 0
		.amdhsa_next_free_vgpr 42
		.amdhsa_next_free_sgpr 41
		.amdhsa_accum_offset 44
		.amdhsa_reserve_vcc 1
		.amdhsa_float_round_mode_32 0
		.amdhsa_float_round_mode_16_64 0
		.amdhsa_float_denorm_mode_32 3
		.amdhsa_float_denorm_mode_16_64 3
		.amdhsa_dx10_clamp 1
		.amdhsa_ieee_mode 1
		.amdhsa_fp16_overflow 0
		.amdhsa_tg_split 0
		.amdhsa_exception_fp_ieee_invalid_op 0
		.amdhsa_exception_fp_denorm_src 0
		.amdhsa_exception_fp_ieee_div_zero 0
		.amdhsa_exception_fp_ieee_overflow 0
		.amdhsa_exception_fp_ieee_underflow 0
		.amdhsa_exception_fp_ieee_inexact 0
		.amdhsa_exception_int_div_zero 0
	.end_amdhsa_kernel
	.text
.Lfunc_end0:
	.size	fft_rtc_back_len125_factors_5_5_5_wgs_400_tpt_25_half_ip_CI_sbcc_twdbase6_3step_dirReg_intrinsicRead, .Lfunc_end0-fft_rtc_back_len125_factors_5_5_5_wgs_400_tpt_25_half_ip_CI_sbcc_twdbase6_3step_dirReg_intrinsicRead
                                        ; -- End function
	.section	.AMDGPU.csdata,"",@progbits
; Kernel info:
; codeLenInByte = 4536
; NumSgprs: 47
; NumVgprs: 42
; NumAgprs: 0
; TotalNumVgprs: 42
; ScratchSize: 0
; MemoryBound: 0
; FloatMode: 240
; IeeeMode: 1
; LDSByteSize: 0 bytes/workgroup (compile time only)
; SGPRBlocks: 5
; VGPRBlocks: 5
; NumSGPRsForWavesPerEU: 47
; NumVGPRsForWavesPerEU: 42
; AccumOffset: 44
; Occupancy: 7
; WaveLimiterHint : 1
; COMPUTE_PGM_RSRC2:SCRATCH_EN: 0
; COMPUTE_PGM_RSRC2:USER_SGPR: 2
; COMPUTE_PGM_RSRC2:TRAP_HANDLER: 0
; COMPUTE_PGM_RSRC2:TGID_X_EN: 1
; COMPUTE_PGM_RSRC2:TGID_Y_EN: 0
; COMPUTE_PGM_RSRC2:TGID_Z_EN: 0
; COMPUTE_PGM_RSRC2:TIDIG_COMP_CNT: 0
; COMPUTE_PGM_RSRC3_GFX90A:ACCUM_OFFSET: 10
; COMPUTE_PGM_RSRC3_GFX90A:TG_SPLIT: 0
	.text
	.p2alignl 6, 3212836864
	.fill 256, 4, 3212836864
	.type	__hip_cuid_897ab2a1fc82397,@object ; @__hip_cuid_897ab2a1fc82397
	.section	.bss,"aw",@nobits
	.globl	__hip_cuid_897ab2a1fc82397
__hip_cuid_897ab2a1fc82397:
	.byte	0                               ; 0x0
	.size	__hip_cuid_897ab2a1fc82397, 1

	.ident	"AMD clang version 19.0.0git (https://github.com/RadeonOpenCompute/llvm-project roc-6.4.0 25133 c7fe45cf4b819c5991fe208aaa96edf142730f1d)"
	.section	".note.GNU-stack","",@progbits
	.addrsig
	.addrsig_sym __hip_cuid_897ab2a1fc82397
	.amdgpu_metadata
---
amdhsa.kernels:
  - .agpr_count:     0
    .args:
      - .actual_access:  read_only
        .address_space:  global
        .offset:         0
        .size:           8
        .value_kind:     global_buffer
      - .address_space:  global
        .offset:         8
        .size:           8
        .value_kind:     global_buffer
      - .offset:         16
        .size:           8
        .value_kind:     by_value
      - .actual_access:  read_only
        .address_space:  global
        .offset:         24
        .size:           8
        .value_kind:     global_buffer
      - .actual_access:  read_only
        .address_space:  global
        .offset:         32
        .size:           8
        .value_kind:     global_buffer
      - .offset:         40
        .size:           8
        .value_kind:     by_value
      - .actual_access:  read_only
        .address_space:  global
        .offset:         48
        .size:           8
        .value_kind:     global_buffer
      - .actual_access:  read_only
        .address_space:  global
        .offset:         56
        .size:           8
        .value_kind:     global_buffer
      - .offset:         64
        .size:           4
        .value_kind:     by_value
      - .actual_access:  read_only
        .address_space:  global
        .offset:         72
        .size:           8
        .value_kind:     global_buffer
      - .actual_access:  read_only
        .address_space:  global
        .offset:         80
        .size:           8
        .value_kind:     global_buffer
      - .address_space:  global
        .offset:         88
        .size:           8
        .value_kind:     global_buffer
    .group_segment_fixed_size: 0
    .kernarg_segment_align: 8
    .kernarg_segment_size: 96
    .language:       OpenCL C
    .language_version:
      - 2
      - 0
    .max_flat_workgroup_size: 400
    .name:           fft_rtc_back_len125_factors_5_5_5_wgs_400_tpt_25_half_ip_CI_sbcc_twdbase6_3step_dirReg_intrinsicRead
    .private_segment_fixed_size: 0
    .sgpr_count:     47
    .sgpr_spill_count: 0
    .symbol:         fft_rtc_back_len125_factors_5_5_5_wgs_400_tpt_25_half_ip_CI_sbcc_twdbase6_3step_dirReg_intrinsicRead.kd
    .uniform_work_group_size: 1
    .uses_dynamic_stack: false
    .vgpr_count:     42
    .vgpr_spill_count: 0
    .wavefront_size: 64
amdhsa.target:   amdgcn-amd-amdhsa--gfx950
amdhsa.version:
  - 1
  - 2
...

	.end_amdgpu_metadata
